;; amdgpu-corpus repo=ROCm/rocFFT kind=compiled arch=gfx906 opt=O3
	.text
	.amdgcn_target "amdgcn-amd-amdhsa--gfx906"
	.amdhsa_code_object_version 6
	.protected	fft_rtc_back_len196_factors_4_7_7_wgs_56_tpt_28_sp_op_CI_CI_unitstride_sbrr_C2R_dirReg ; -- Begin function fft_rtc_back_len196_factors_4_7_7_wgs_56_tpt_28_sp_op_CI_CI_unitstride_sbrr_C2R_dirReg
	.globl	fft_rtc_back_len196_factors_4_7_7_wgs_56_tpt_28_sp_op_CI_CI_unitstride_sbrr_C2R_dirReg
	.p2align	8
	.type	fft_rtc_back_len196_factors_4_7_7_wgs_56_tpt_28_sp_op_CI_CI_unitstride_sbrr_C2R_dirReg,@function
fft_rtc_back_len196_factors_4_7_7_wgs_56_tpt_28_sp_op_CI_CI_unitstride_sbrr_C2R_dirReg: ; @fft_rtc_back_len196_factors_4_7_7_wgs_56_tpt_28_sp_op_CI_CI_unitstride_sbrr_C2R_dirReg
; %bb.0:
	s_load_dwordx4 s[8:11], s[4:5], 0x58
	s_load_dwordx4 s[12:15], s[4:5], 0x0
	;; [unrolled: 1-line block ×3, first 2 shown]
	v_mul_u32_u24_e32 v1, 0x925, v0
	v_lshrrev_b32_e32 v7, 16, v1
	v_mov_b32_e32 v3, 0
	s_waitcnt lgkmcnt(0)
	v_cmp_lt_u64_e64 s[0:1], s[14:15], 2
	v_mov_b32_e32 v1, 0
	v_lshl_add_u32 v5, s6, 1, v7
	v_mov_b32_e32 v6, v3
	s_and_b64 vcc, exec, s[0:1]
	v_mov_b32_e32 v2, 0
	s_cbranch_vccnz .LBB0_8
; %bb.1:
	s_load_dwordx2 s[0:1], s[4:5], 0x10
	s_add_u32 s2, s18, 8
	s_addc_u32 s3, s19, 0
	s_add_u32 s6, s16, 8
	v_mov_b32_e32 v1, 0
	s_addc_u32 s7, s17, 0
	v_mov_b32_e32 v2, 0
	s_waitcnt lgkmcnt(0)
	s_add_u32 s20, s0, 8
	v_mov_b32_e32 v13, v2
	s_addc_u32 s21, s1, 0
	s_mov_b64 s[22:23], 1
	v_mov_b32_e32 v12, v1
.LBB0_2:                                ; =>This Inner Loop Header: Depth=1
	s_load_dwordx2 s[24:25], s[20:21], 0x0
                                        ; implicit-def: $vgpr14_vgpr15
	s_waitcnt lgkmcnt(0)
	v_or_b32_e32 v4, s25, v6
	v_cmp_ne_u64_e32 vcc, 0, v[3:4]
	s_and_saveexec_b64 s[0:1], vcc
	s_xor_b64 s[26:27], exec, s[0:1]
	s_cbranch_execz .LBB0_4
; %bb.3:                                ;   in Loop: Header=BB0_2 Depth=1
	v_cvt_f32_u32_e32 v4, s24
	v_cvt_f32_u32_e32 v8, s25
	s_sub_u32 s0, 0, s24
	s_subb_u32 s1, 0, s25
	v_mac_f32_e32 v4, 0x4f800000, v8
	v_rcp_f32_e32 v4, v4
	v_mul_f32_e32 v4, 0x5f7ffffc, v4
	v_mul_f32_e32 v8, 0x2f800000, v4
	v_trunc_f32_e32 v8, v8
	v_mac_f32_e32 v4, 0xcf800000, v8
	v_cvt_u32_f32_e32 v8, v8
	v_cvt_u32_f32_e32 v4, v4
	v_mul_lo_u32 v9, s0, v8
	v_mul_hi_u32 v10, s0, v4
	v_mul_lo_u32 v14, s1, v4
	v_mul_lo_u32 v11, s0, v4
	v_add_u32_e32 v9, v10, v9
	v_add_u32_e32 v9, v9, v14
	v_mul_hi_u32 v10, v4, v11
	v_mul_lo_u32 v14, v4, v9
	v_mul_hi_u32 v16, v4, v9
	v_mul_hi_u32 v15, v8, v11
	v_mul_lo_u32 v11, v8, v11
	v_mul_hi_u32 v17, v8, v9
	v_add_co_u32_e32 v10, vcc, v10, v14
	v_addc_co_u32_e32 v14, vcc, 0, v16, vcc
	v_mul_lo_u32 v9, v8, v9
	v_add_co_u32_e32 v10, vcc, v10, v11
	v_addc_co_u32_e32 v10, vcc, v14, v15, vcc
	v_addc_co_u32_e32 v11, vcc, 0, v17, vcc
	v_add_co_u32_e32 v9, vcc, v10, v9
	v_addc_co_u32_e32 v10, vcc, 0, v11, vcc
	v_add_co_u32_e32 v4, vcc, v4, v9
	v_addc_co_u32_e32 v8, vcc, v8, v10, vcc
	v_mul_lo_u32 v9, s0, v8
	v_mul_hi_u32 v10, s0, v4
	v_mul_lo_u32 v11, s1, v4
	v_mul_lo_u32 v14, s0, v4
	v_add_u32_e32 v9, v10, v9
	v_add_u32_e32 v9, v9, v11
	v_mul_lo_u32 v15, v4, v9
	v_mul_hi_u32 v16, v4, v14
	v_mul_hi_u32 v17, v4, v9
	;; [unrolled: 1-line block ×3, first 2 shown]
	v_mul_lo_u32 v14, v8, v14
	v_mul_hi_u32 v10, v8, v9
	v_add_co_u32_e32 v15, vcc, v16, v15
	v_addc_co_u32_e32 v16, vcc, 0, v17, vcc
	v_mul_lo_u32 v9, v8, v9
	v_add_co_u32_e32 v14, vcc, v15, v14
	v_addc_co_u32_e32 v11, vcc, v16, v11, vcc
	v_addc_co_u32_e32 v10, vcc, 0, v10, vcc
	v_add_co_u32_e32 v9, vcc, v11, v9
	v_addc_co_u32_e32 v10, vcc, 0, v10, vcc
	v_add_co_u32_e32 v4, vcc, v4, v9
	v_addc_co_u32_e32 v10, vcc, v8, v10, vcc
	v_mad_u64_u32 v[8:9], s[0:1], v5, v10, 0
	v_mul_hi_u32 v11, v5, v4
	v_add_co_u32_e32 v14, vcc, v11, v8
	v_addc_co_u32_e32 v15, vcc, 0, v9, vcc
	v_mad_u64_u32 v[8:9], s[0:1], v6, v4, 0
	v_mad_u64_u32 v[10:11], s[0:1], v6, v10, 0
	v_add_co_u32_e32 v4, vcc, v14, v8
	v_addc_co_u32_e32 v4, vcc, v15, v9, vcc
	v_addc_co_u32_e32 v8, vcc, 0, v11, vcc
	v_add_co_u32_e32 v4, vcc, v4, v10
	v_addc_co_u32_e32 v10, vcc, 0, v8, vcc
	v_mul_lo_u32 v11, s25, v4
	v_mul_lo_u32 v14, s24, v10
	v_mad_u64_u32 v[8:9], s[0:1], s24, v4, 0
	v_add3_u32 v9, v9, v14, v11
	v_sub_u32_e32 v11, v6, v9
	v_mov_b32_e32 v14, s25
	v_sub_co_u32_e32 v8, vcc, v5, v8
	v_subb_co_u32_e64 v11, s[0:1], v11, v14, vcc
	v_subrev_co_u32_e64 v14, s[0:1], s24, v8
	v_subbrev_co_u32_e64 v11, s[0:1], 0, v11, s[0:1]
	v_cmp_le_u32_e64 s[0:1], s25, v11
	v_cndmask_b32_e64 v15, 0, -1, s[0:1]
	v_cmp_le_u32_e64 s[0:1], s24, v14
	v_cndmask_b32_e64 v14, 0, -1, s[0:1]
	v_cmp_eq_u32_e64 s[0:1], s25, v11
	v_cndmask_b32_e64 v11, v15, v14, s[0:1]
	v_add_co_u32_e64 v14, s[0:1], 2, v4
	v_addc_co_u32_e64 v15, s[0:1], 0, v10, s[0:1]
	v_add_co_u32_e64 v16, s[0:1], 1, v4
	v_addc_co_u32_e64 v17, s[0:1], 0, v10, s[0:1]
	v_subb_co_u32_e32 v9, vcc, v6, v9, vcc
	v_cmp_ne_u32_e64 s[0:1], 0, v11
	v_cmp_le_u32_e32 vcc, s25, v9
	v_cndmask_b32_e64 v11, v17, v15, s[0:1]
	v_cndmask_b32_e64 v15, 0, -1, vcc
	v_cmp_le_u32_e32 vcc, s24, v8
	v_cndmask_b32_e64 v8, 0, -1, vcc
	v_cmp_eq_u32_e32 vcc, s25, v9
	v_cndmask_b32_e32 v8, v15, v8, vcc
	v_cmp_ne_u32_e32 vcc, 0, v8
	v_cndmask_b32_e64 v8, v16, v14, s[0:1]
	v_cndmask_b32_e32 v15, v10, v11, vcc
	v_cndmask_b32_e32 v14, v4, v8, vcc
.LBB0_4:                                ;   in Loop: Header=BB0_2 Depth=1
	s_andn2_saveexec_b64 s[0:1], s[26:27]
	s_cbranch_execz .LBB0_6
; %bb.5:                                ;   in Loop: Header=BB0_2 Depth=1
	v_cvt_f32_u32_e32 v4, s24
	s_sub_i32 s26, 0, s24
	v_mov_b32_e32 v15, v3
	v_rcp_iflag_f32_e32 v4, v4
	v_mul_f32_e32 v4, 0x4f7ffffe, v4
	v_cvt_u32_f32_e32 v4, v4
	v_mul_lo_u32 v8, s26, v4
	v_mul_hi_u32 v8, v4, v8
	v_add_u32_e32 v4, v4, v8
	v_mul_hi_u32 v4, v5, v4
	v_mul_lo_u32 v8, v4, s24
	v_add_u32_e32 v9, 1, v4
	v_sub_u32_e32 v8, v5, v8
	v_subrev_u32_e32 v10, s24, v8
	v_cmp_le_u32_e32 vcc, s24, v8
	v_cndmask_b32_e32 v8, v8, v10, vcc
	v_cndmask_b32_e32 v4, v4, v9, vcc
	v_add_u32_e32 v9, 1, v4
	v_cmp_le_u32_e32 vcc, s24, v8
	v_cndmask_b32_e32 v14, v4, v9, vcc
.LBB0_6:                                ;   in Loop: Header=BB0_2 Depth=1
	s_or_b64 exec, exec, s[0:1]
	v_mul_lo_u32 v4, v15, s24
	v_mul_lo_u32 v10, v14, s25
	v_mad_u64_u32 v[8:9], s[0:1], v14, s24, 0
	s_load_dwordx2 s[0:1], s[6:7], 0x0
	s_load_dwordx2 s[24:25], s[2:3], 0x0
	v_add3_u32 v4, v9, v10, v4
	v_sub_co_u32_e32 v5, vcc, v5, v8
	v_subb_co_u32_e32 v4, vcc, v6, v4, vcc
	s_waitcnt lgkmcnt(0)
	v_mul_lo_u32 v6, s0, v4
	v_mul_lo_u32 v8, s1, v5
	v_mad_u64_u32 v[1:2], s[0:1], s0, v5, v[1:2]
	v_mul_lo_u32 v4, s24, v4
	v_mul_lo_u32 v9, s25, v5
	v_mad_u64_u32 v[12:13], s[0:1], s24, v5, v[12:13]
	s_add_u32 s22, s22, 1
	s_addc_u32 s23, s23, 0
	s_add_u32 s2, s2, 8
	v_add3_u32 v13, v9, v13, v4
	s_addc_u32 s3, s3, 0
	v_mov_b32_e32 v4, s14
	s_add_u32 s6, s6, 8
	v_mov_b32_e32 v5, s15
	s_addc_u32 s7, s7, 0
	v_cmp_ge_u64_e32 vcc, s[22:23], v[4:5]
	s_add_u32 s20, s20, 8
	v_add3_u32 v2, v8, v2, v6
	s_addc_u32 s21, s21, 0
	s_cbranch_vccnz .LBB0_9
; %bb.7:                                ;   in Loop: Header=BB0_2 Depth=1
	v_mov_b32_e32 v5, v14
	v_mov_b32_e32 v6, v15
	s_branch .LBB0_2
.LBB0_8:
	v_mov_b32_e32 v13, v2
	v_mov_b32_e32 v15, v6
	;; [unrolled: 1-line block ×4, first 2 shown]
.LBB0_9:
	s_load_dwordx2 s[2:3], s[4:5], 0x28
	s_lshl_b64 s[6:7], s[14:15], 3
	s_add_u32 s14, s18, s6
	v_and_b32_e32 v3, 1, v7
	s_addc_u32 s15, s19, s7
	s_waitcnt lgkmcnt(0)
	v_cmp_gt_u64_e32 vcc, s[2:3], v[14:15]
	v_cmp_le_u64_e64 s[2:3], s[2:3], v[14:15]
	v_cmp_eq_u32_e64 s[0:1], 1, v3
	v_mov_b32_e32 v3, 0xc5
                                        ; implicit-def: $vgpr16
	s_and_saveexec_b64 s[4:5], s[2:3]
	s_xor_b64 s[2:3], exec, s[4:5]
; %bb.10:
	s_mov_b32 s4, 0x924924a
	v_mul_hi_u32 v1, v0, s4
	v_mul_u32_u24_e32 v1, 28, v1
	v_sub_u32_e32 v16, v0, v1
                                        ; implicit-def: $vgpr0
                                        ; implicit-def: $vgpr1_vgpr2
; %bb.11:
	s_or_saveexec_b64 s[4:5], s[2:3]
	s_load_dwordx2 s[2:3], s[14:15], 0x0
	v_cndmask_b32_e64 v3, 0, v3, s[0:1]
	v_lshlrev_b32_e32 v22, 3, v3
	s_xor_b64 exec, exec, s[4:5]
	s_cbranch_execz .LBB0_15
; %bb.12:
	s_add_u32 s0, s16, s6
	s_addc_u32 s1, s17, s7
	s_load_dwordx2 s[0:1], s[0:1], 0x0
	s_mov_b32 s6, 0x924924a
	v_mul_hi_u32 v6, v0, s6
	s_waitcnt lgkmcnt(0)
	v_mul_lo_u32 v7, s1, v14
	v_mul_lo_u32 v8, s0, v15
	v_mad_u64_u32 v[4:5], s[0:1], s0, v14, 0
	v_mul_u32_u24_e32 v6, 28, v6
	v_sub_u32_e32 v16, v0, v6
	v_add3_u32 v5, v5, v8, v7
	v_lshlrev_b64 v[4:5], 3, v[4:5]
	v_mov_b32_e32 v0, s9
	v_add_co_u32_e64 v4, s[0:1], s8, v4
	v_addc_co_u32_e64 v5, s[0:1], v0, v5, s[0:1]
	v_lshlrev_b64 v[0:1], 3, v[1:2]
	v_lshlrev_b32_e32 v2, 3, v16
	v_add_co_u32_e64 v0, s[0:1], v4, v0
	v_addc_co_u32_e64 v1, s[0:1], v5, v1, s[0:1]
	v_add_co_u32_e64 v4, s[0:1], v0, v2
	v_addc_co_u32_e64 v5, s[0:1], 0, v1, s[0:1]
	global_load_dwordx2 v[6:7], v[4:5], off
	global_load_dwordx2 v[8:9], v[4:5], off offset:224
	global_load_dwordx2 v[10:11], v[4:5], off offset:448
	;; [unrolled: 1-line block ×6, first 2 shown]
	v_add3_u32 v2, 0, v22, v2
	v_cmp_eq_u32_e64 s[0:1], 27, v16
	s_waitcnt vmcnt(5)
	ds_write2_b64 v2, v[6:7], v[8:9] offset1:28
	s_waitcnt vmcnt(3)
	ds_write2_b64 v2, v[10:11], v[17:18] offset0:56 offset1:84
	s_waitcnt vmcnt(1)
	ds_write2_b64 v2, v[19:20], v[23:24] offset0:112 offset1:140
	s_waitcnt vmcnt(0)
	ds_write_b64 v2, v[25:26] offset:1344
	s_and_saveexec_b64 s[6:7], s[0:1]
	s_cbranch_execz .LBB0_14
; %bb.13:
	global_load_dwordx2 v[0:1], v[0:1], off offset:1568
	v_mov_b32_e32 v16, 27
	s_waitcnt vmcnt(0)
	ds_write_b64 v2, v[0:1] offset:1352
.LBB0_14:
	s_or_b64 exec, exec, s[6:7]
.LBB0_15:
	s_or_b64 exec, exec, s[4:5]
	v_lshl_add_u32 v19, v3, 3, 0
	v_lshlrev_b32_e32 v4, 3, v16
	v_add_u32_e32 v21, v19, v4
	s_waitcnt lgkmcnt(0)
	; wave barrier
	s_waitcnt lgkmcnt(0)
	v_sub_u32_e32 v5, v19, v4
	ds_read_b32 v6, v21
	ds_read_b32 v7, v5 offset:1568
	v_cmp_ne_u32_e64 s[0:1], 0, v16
                                        ; implicit-def: $vgpr2_vgpr3
	s_waitcnt lgkmcnt(0)
	v_add_f32_e32 v0, v7, v6
	v_sub_f32_e32 v1, v6, v7
	s_and_saveexec_b64 s[4:5], s[0:1]
	s_xor_b64 s[4:5], exec, s[4:5]
	s_cbranch_execz .LBB0_17
; %bb.16:
	v_mov_b32_e32 v17, 0
	v_lshlrev_b64 v[0:1], 3, v[16:17]
	v_mov_b32_e32 v2, s13
	v_add_co_u32_e64 v0, s[0:1], s12, v0
	v_addc_co_u32_e64 v1, s[0:1], v2, v1, s[0:1]
	global_load_dwordx2 v[2:3], v[0:1], off offset:1536
	ds_read_b32 v0, v5 offset:1572
	ds_read_b32 v1, v21 offset:4
	v_add_f32_e32 v8, v7, v6
	v_sub_f32_e32 v9, v6, v7
	s_waitcnt lgkmcnt(0)
	v_add_f32_e32 v10, v0, v1
	v_sub_f32_e32 v0, v1, v0
	s_waitcnt vmcnt(0)
	v_fma_f32 v11, v9, v3, v8
	v_fma_f32 v1, v10, v3, v0
	v_fma_f32 v6, -v9, v3, v8
	v_fma_f32 v7, v10, v3, -v0
	v_fma_f32 v0, -v2, v10, v11
	v_fmac_f32_e32 v1, v9, v2
	v_fmac_f32_e32 v6, v2, v10
	;; [unrolled: 1-line block ×3, first 2 shown]
	v_mov_b32_e32 v2, v16
	ds_write_b64 v5, v[6:7] offset:1568
	v_mov_b32_e32 v3, v17
.LBB0_17:
	s_andn2_saveexec_b64 s[0:1], s[4:5]
	s_cbranch_execz .LBB0_19
; %bb.18:
	ds_read_b64 v[2:3], v19 offset:784
	s_waitcnt lgkmcnt(0)
	v_add_f32_e32 v6, v2, v2
	v_mul_f32_e32 v7, -2.0, v3
	v_mov_b32_e32 v2, 0
	v_mov_b32_e32 v3, 0
	ds_write_b64 v19, v[6:7] offset:784
.LBB0_19:
	s_or_b64 exec, exec, s[0:1]
	s_add_u32 s0, s12, 0x600
	v_lshlrev_b64 v[2:3], 3, v[2:3]
	s_addc_u32 s1, s13, 0
	v_mov_b32_e32 v6, s1
	v_add_co_u32_e64 v2, s[0:1], s0, v2
	v_addc_co_u32_e64 v3, s[0:1], v6, v3, s[0:1]
	global_load_dwordx2 v[6:7], v[2:3], off offset:224
	global_load_dwordx2 v[8:9], v[2:3], off offset:448
	ds_write_b64 v21, v[0:1]
	ds_read_b64 v[0:1], v21 offset:224
	ds_read_b64 v[10:11], v5 offset:1344
	v_cmp_gt_u32_e64 s[0:1], 14, v16
	s_waitcnt lgkmcnt(0)
	v_add_f32_e32 v17, v0, v10
	v_add_f32_e32 v18, v11, v1
	v_sub_f32_e32 v20, v0, v10
	v_sub_f32_e32 v0, v1, v11
	s_waitcnt vmcnt(1)
	v_fma_f32 v23, v20, v7, v17
	v_fma_f32 v1, v18, v7, v0
	v_fma_f32 v10, -v20, v7, v17
	v_fma_f32 v11, v18, v7, -v0
	v_fma_f32 v0, -v6, v18, v23
	v_fmac_f32_e32 v1, v20, v6
	v_fmac_f32_e32 v10, v6, v18
	;; [unrolled: 1-line block ×3, first 2 shown]
	ds_write_b64 v21, v[0:1] offset:224
	ds_write_b64 v5, v[10:11] offset:1344
	ds_read_b64 v[0:1], v21 offset:448
	ds_read_b64 v[6:7], v5 offset:1120
	s_waitcnt lgkmcnt(0)
	v_add_f32_e32 v10, v0, v6
	v_add_f32_e32 v11, v7, v1
	v_sub_f32_e32 v17, v0, v6
	v_sub_f32_e32 v0, v1, v7
	s_waitcnt vmcnt(0)
	v_fma_f32 v18, v17, v9, v10
	v_fma_f32 v1, v11, v9, v0
	v_fma_f32 v6, -v17, v9, v10
	v_fma_f32 v7, v11, v9, -v0
	v_fma_f32 v0, -v8, v11, v18
	v_fmac_f32_e32 v1, v17, v8
	v_fmac_f32_e32 v6, v8, v11
	;; [unrolled: 1-line block ×3, first 2 shown]
	ds_write_b64 v21, v[0:1] offset:448
	ds_write_b64 v5, v[6:7] offset:1120
	s_and_saveexec_b64 s[4:5], s[0:1]
	s_cbranch_execz .LBB0_21
; %bb.20:
	global_load_dwordx2 v[0:1], v[2:3], off offset:672
	ds_read_b64 v[2:3], v21 offset:672
	ds_read_b64 v[6:7], v5 offset:896
	s_waitcnt lgkmcnt(0)
	v_add_f32_e32 v8, v2, v6
	v_add_f32_e32 v9, v7, v3
	v_sub_f32_e32 v10, v2, v6
	v_sub_f32_e32 v3, v3, v7
	s_waitcnt vmcnt(0)
	v_fma_f32 v11, v10, v1, v8
	v_fma_f32 v2, v9, v1, v3
	v_fma_f32 v6, -v10, v1, v8
	v_fma_f32 v7, v9, v1, -v3
	v_fma_f32 v1, -v0, v9, v11
	v_fmac_f32_e32 v2, v10, v0
	v_fmac_f32_e32 v6, v0, v9
	;; [unrolled: 1-line block ×3, first 2 shown]
	ds_write_b64 v21, v[1:2] offset:672
	ds_write_b64 v5, v[6:7] offset:896
.LBB0_21:
	s_or_b64 exec, exec, s[4:5]
	v_add3_u32 v20, 0, v4, v22
	s_waitcnt lgkmcnt(0)
	; wave barrier
	s_waitcnt lgkmcnt(0)
	s_waitcnt lgkmcnt(0)
	; wave barrier
	s_waitcnt lgkmcnt(0)
	ds_read2_b64 v[0:3], v20 offset0:77 offset1:98
	ds_read_b64 v[23:24], v21
	ds_read2_b64 v[4:7], v20 offset0:28 offset1:49
	ds_read_b64 v[17:18], v20 offset:1400
	ds_read2_b64 v[8:11], v20 offset0:126 offset1:147
	v_cmp_gt_u32_e64 s[0:1], 21, v16
	s_waitcnt lgkmcnt(3)
	v_sub_f32_e32 v25, v23, v2
	v_sub_f32_e32 v26, v24, v3
	v_fma_f32 v23, v23, 2.0, -v25
	s_waitcnt lgkmcnt(0)
	v_sub_f32_e32 v27, v6, v10
	v_sub_f32_e32 v10, v7, v11
	v_fma_f32 v24, v24, 2.0, -v26
	v_fma_f32 v2, v6, 2.0, -v27
	v_fma_f32 v3, v7, 2.0, -v10
	v_sub_f32_e32 v2, v23, v2
	v_sub_f32_e32 v3, v24, v3
	v_add_f32_e32 v10, v25, v10
	v_sub_f32_e32 v11, v26, v27
	v_fma_f32 v6, v23, 2.0, -v2
	v_fma_f32 v7, v24, 2.0, -v3
	;; [unrolled: 1-line block ×4, first 2 shown]
	v_mad_u32_u24 v25, v16, 24, v20
	s_waitcnt lgkmcnt(0)
	; wave barrier
	ds_write2_b64 v25, v[6:7], v[23:24] offset1:1
	ds_write2_b64 v25, v[2:3], v[10:11] offset0:2 offset1:3
	s_and_saveexec_b64 s[4:5], s[0:1]
	s_cbranch_execz .LBB0_23
; %bb.22:
	v_sub_f32_e32 v9, v5, v9
	v_sub_f32_e32 v11, v0, v17
	;; [unrolled: 1-line block ×4, first 2 shown]
	v_fma_f32 v5, v5, 2.0, -v9
	v_fma_f32 v1, v1, 2.0, -v17
	;; [unrolled: 1-line block ×4, first 2 shown]
	v_lshlrev_b32_e32 v10, 5, v16
	v_sub_f32_e32 v3, v9, v11
	v_add_f32_e32 v2, v8, v17
	v_sub_f32_e32 v1, v5, v1
	v_sub_f32_e32 v0, v4, v0
	v_fma_f32 v7, v9, 2.0, -v3
	v_fma_f32 v6, v8, 2.0, -v2
	;; [unrolled: 1-line block ×4, first 2 shown]
	v_add3_u32 v8, v10, 0, v22
	ds_write2_b64 v8, v[4:5], v[6:7] offset0:112 offset1:113
	ds_write2_b64 v8, v[0:1], v[2:3] offset0:114 offset1:115
.LBB0_23:
	s_or_b64 exec, exec, s[4:5]
	v_and_b32_e32 v31, 3, v16
	v_mul_u32_u24_e32 v0, 6, v31
	v_lshlrev_b32_e32 v17, 3, v0
	s_waitcnt lgkmcnt(0)
	; wave barrier
	s_waitcnt lgkmcnt(0)
	global_load_dwordx4 v[0:3], v17, s[12:13]
	global_load_dwordx4 v[4:7], v17, s[12:13] offset:16
	global_load_dwordx4 v[8:11], v17, s[12:13] offset:32
	ds_read2_b64 v[23:26], v20 offset0:28 offset1:56
	ds_read2_b64 v[27:30], v20 offset0:84 offset1:112
	s_mov_b32 s0, 0x3f3bfb3b
	s_mov_b32 s1, 0xbf3bfb3b
	;; [unrolled: 1-line block ×4, first 2 shown]
	s_waitcnt vmcnt(2) lgkmcnt(1)
	v_mul_f32_e32 v32, v1, v24
	v_mul_f32_e32 v1, v1, v23
	;; [unrolled: 1-line block ×4, first 2 shown]
	v_fmac_f32_e32 v32, v0, v23
	v_fma_f32 v23, v0, v24, -v1
	v_fmac_f32_e32 v33, v2, v25
	v_fma_f32 v24, v2, v26, -v3
	ds_read2_b64 v[0:3], v20 offset0:140 offset1:168
	ds_read_b64 v[17:18], v21
	s_waitcnt vmcnt(1) lgkmcnt(2)
	v_mul_f32_e32 v25, v5, v28
	v_mul_f32_e32 v5, v5, v27
	;; [unrolled: 1-line block ×4, first 2 shown]
	v_fmac_f32_e32 v25, v4, v27
	v_fma_f32 v4, v4, v28, -v5
	v_fmac_f32_e32 v26, v6, v29
	v_fma_f32 v5, v6, v30, -v7
	s_waitcnt vmcnt(0) lgkmcnt(1)
	v_mul_f32_e32 v6, v9, v1
	v_mul_f32_e32 v7, v9, v0
	;; [unrolled: 1-line block ×4, first 2 shown]
	v_fmac_f32_e32 v6, v8, v0
	v_fma_f32 v0, v8, v1, -v7
	v_fmac_f32_e32 v9, v10, v2
	v_fma_f32 v1, v10, v3, -v11
	v_add_f32_e32 v2, v32, v9
	v_add_f32_e32 v3, v23, v1
	v_sub_f32_e32 v7, v32, v9
	v_add_f32_e32 v8, v33, v6
	v_add_f32_e32 v9, v24, v0
	v_sub_f32_e32 v1, v23, v1
	v_sub_f32_e32 v6, v33, v6
	;; [unrolled: 1-line block ×3, first 2 shown]
	v_add_f32_e32 v10, v25, v26
	v_add_f32_e32 v11, v4, v5
	v_sub_f32_e32 v23, v26, v25
	v_sub_f32_e32 v4, v5, v4
	v_add_f32_e32 v5, v8, v2
	v_add_f32_e32 v24, v9, v3
	v_sub_f32_e32 v25, v8, v2
	v_sub_f32_e32 v26, v9, v3
	;; [unrolled: 1-line block ×6, first 2 shown]
	v_add_f32_e32 v29, v4, v0
	v_add_f32_e32 v5, v10, v5
	;; [unrolled: 1-line block ×3, first 2 shown]
	v_sub_f32_e32 v9, v11, v9
	v_add_f32_e32 v27, v23, v6
	v_sub_f32_e32 v6, v6, v7
	v_sub_f32_e32 v30, v4, v0
	;; [unrolled: 1-line block ×4, first 2 shown]
	v_add_f32_e32 v11, v29, v1
	v_mul_f32_e32 v2, 0x3f4a47b2, v2
	v_mul_f32_e32 v24, 0x3d64c772, v8
	;; [unrolled: 1-line block ×4, first 2 shown]
	s_waitcnt lgkmcnt(0)
	v_add_f32_e32 v0, v5, v17
	v_add_f32_e32 v1, v10, v18
	v_sub_f32_e32 v23, v7, v23
	v_add_f32_e32 v7, v27, v7
	v_mul_f32_e32 v27, 0x3d64c772, v9
	v_mul_f32_e32 v29, 0xbf5ff5aa, v6
	v_fma_f32 v17, v25, s0, -v24
	v_fma_f32 v18, v25, s1, -v2
	;; [unrolled: 1-line block ×3, first 2 shown]
	v_fmac_f32_e32 v3, 0x3d64c772, v9
	v_fma_f32 v9, v6, s4, -v28
	v_mov_b32_e32 v6, v0
	v_mov_b32_e32 v25, v1
	v_fmac_f32_e32 v2, 0x3d64c772, v8
	v_fma_f32 v8, v26, s0, -v27
	v_fmac_f32_e32 v28, 0xbeae86e6, v23
	v_fmac_f32_e32 v6, 0xbf955555, v5
	;; [unrolled: 1-line block ×3, first 2 shown]
	v_fma_f32 v23, v23, s5, -v29
	v_mul_f32_e32 v26, 0x3f08b237, v30
	v_mul_f32_e32 v5, 0xbf5ff5aa, v32
	v_fma_f32 v10, v32, s4, -v26
	v_fmac_f32_e32 v26, 0xbeae86e6, v4
	v_fma_f32 v27, v4, s5, -v5
	v_add_f32_e32 v8, v8, v25
	v_add_f32_e32 v24, v24, v25
	v_fmac_f32_e32 v9, 0xbee1c552, v7
	v_fmac_f32_e32 v23, 0xbee1c552, v7
	;; [unrolled: 1-line block ×6, first 2 shown]
	v_add_f32_e32 v5, v9, v8
	v_sub_f32_e32 v7, v8, v9
	v_sub_f32_e32 v9, v24, v23
	v_add_f32_e32 v11, v23, v24
	v_lshrrev_b32_e32 v23, 2, v16
	v_mul_u32_u24_e32 v23, 28, v23
	v_or_b32_e32 v23, v23, v31
	v_add_f32_e32 v29, v2, v6
	v_add_f32_e32 v30, v3, v25
	v_lshlrev_b32_e32 v23, 3, v23
	v_add_f32_e32 v17, v17, v6
	v_add_f32_e32 v18, v18, v6
	;; [unrolled: 1-line block ×3, first 2 shown]
	v_sub_f32_e32 v3, v30, v28
	v_add3_u32 v22, 0, v23, v22
	v_sub_f32_e32 v4, v17, v10
	v_add_f32_e32 v6, v10, v17
	v_add_f32_e32 v8, v27, v18
	v_sub_f32_e32 v10, v18, v27
	v_sub_f32_e32 v17, v29, v26
	v_add_f32_e32 v18, v28, v30
	s_waitcnt lgkmcnt(0)
	; wave barrier
	ds_write2_b64 v22, v[0:1], v[2:3] offset1:4
	ds_write2_b64 v22, v[8:9], v[4:5] offset0:8 offset1:12
	ds_write2_b64 v22, v[6:7], v[10:11] offset0:16 offset1:20
	ds_write_b64 v22, v[17:18] offset:192
	v_mul_u32_u24_e32 v0, 6, v16
	v_lshlrev_b32_e32 v17, 3, v0
	s_waitcnt lgkmcnt(0)
	; wave barrier
	s_waitcnt lgkmcnt(0)
	global_load_dwordx4 v[0:3], v17, s[12:13] offset:192
	global_load_dwordx4 v[4:7], v17, s[12:13] offset:208
	;; [unrolled: 1-line block ×3, first 2 shown]
	ds_read2_b64 v[22:25], v20 offset0:28 offset1:56
	ds_read2_b64 v[26:29], v20 offset0:84 offset1:112
	;; [unrolled: 1-line block ×3, first 2 shown]
	s_waitcnt vmcnt(2) lgkmcnt(2)
	v_mul_f32_e32 v17, v1, v23
	v_mul_f32_e32 v1, v1, v22
	;; [unrolled: 1-line block ×4, first 2 shown]
	v_fmac_f32_e32 v17, v0, v22
	v_fma_f32 v22, v0, v23, -v1
	v_fmac_f32_e32 v18, v2, v24
	v_fma_f32 v2, v2, v25, -v3
	ds_read_b64 v[0:1], v21
	s_waitcnt vmcnt(1) lgkmcnt(2)
	v_mul_f32_e32 v3, v5, v27
	v_mul_f32_e32 v5, v5, v26
	v_mul_f32_e32 v21, v7, v29
	v_mul_f32_e32 v7, v7, v28
	s_waitcnt vmcnt(0) lgkmcnt(1)
	v_mul_f32_e32 v23, v9, v31
	v_mul_f32_e32 v24, v11, v33
	;; [unrolled: 1-line block ×3, first 2 shown]
	v_fmac_f32_e32 v3, v4, v26
	v_fma_f32 v4, v4, v27, -v5
	v_fmac_f32_e32 v21, v6, v28
	v_fma_f32 v5, v6, v29, -v7
	v_mul_f32_e32 v6, v11, v32
	v_fmac_f32_e32 v23, v8, v30
	v_fmac_f32_e32 v24, v10, v32
	v_fma_f32 v7, v8, v31, -v9
	v_fma_f32 v6, v10, v33, -v6
	v_add_f32_e32 v8, v17, v24
	v_add_f32_e32 v11, v18, v23
	;; [unrolled: 1-line block ×3, first 2 shown]
	v_sub_f32_e32 v10, v17, v24
	v_sub_f32_e32 v6, v22, v6
	v_add_f32_e32 v17, v2, v7
	v_sub_f32_e32 v2, v2, v7
	v_add_f32_e32 v7, v3, v21
	v_add_f32_e32 v22, v4, v5
	v_sub_f32_e32 v4, v5, v4
	v_add_f32_e32 v5, v11, v8
	v_sub_f32_e32 v18, v18, v23
	v_sub_f32_e32 v3, v21, v3
	v_add_f32_e32 v21, v17, v9
	v_add_f32_e32 v5, v7, v5
	v_sub_f32_e32 v23, v11, v8
	v_sub_f32_e32 v8, v8, v7
	;; [unrolled: 1-line block ×3, first 2 shown]
	v_add_f32_e32 v26, v4, v2
	v_sub_f32_e32 v27, v3, v18
	v_sub_f32_e32 v7, v4, v2
	v_add_f32_e32 v21, v22, v21
	s_waitcnt lgkmcnt(0)
	v_add_f32_e32 v0, v5, v0
	v_sub_f32_e32 v24, v17, v9
	v_sub_f32_e32 v9, v9, v22
	;; [unrolled: 1-line block ×3, first 2 shown]
	v_add_f32_e32 v25, v3, v18
	v_sub_f32_e32 v4, v6, v4
	v_sub_f32_e32 v2, v2, v6
	v_add_f32_e32 v6, v26, v6
	v_add_f32_e32 v1, v21, v1
	v_mul_f32_e32 v26, 0x3f08b237, v27
	v_mul_f32_e32 v27, 0x3f08b237, v7
	v_mov_b32_e32 v7, v0
	v_sub_f32_e32 v3, v10, v3
	v_sub_f32_e32 v18, v18, v10
	v_add_f32_e32 v10, v25, v10
	v_mul_f32_e32 v8, 0x3f4a47b2, v8
	v_mul_f32_e32 v9, 0x3f4a47b2, v9
	;; [unrolled: 1-line block ×4, first 2 shown]
	v_fmac_f32_e32 v7, 0xbf955555, v5
	v_mov_b32_e32 v5, v1
	v_fmac_f32_e32 v5, 0xbf955555, v21
	v_mul_f32_e32 v21, 0xbf5ff5aa, v18
	v_fma_f32 v22, v23, s0, -v22
	v_fma_f32 v23, v23, s1, -v8
	v_fmac_f32_e32 v8, 0x3d64c772, v11
	v_mul_f32_e32 v11, 0xbf5ff5aa, v2
	v_fma_f32 v25, v24, s0, -v25
	v_fma_f32 v24, v24, s1, -v9
	v_fmac_f32_e32 v9, 0x3d64c772, v17
	v_fma_f32 v17, v18, s4, -v26
	v_fmac_f32_e32 v26, 0xbeae86e6, v3
	;; [unrolled: 2-line block ×3, first 2 shown]
	v_fma_f32 v21, v3, s5, -v21
	v_fma_f32 v11, v4, s5, -v11
	v_add_f32_e32 v28, v8, v7
	v_add_f32_e32 v29, v9, v5
	v_fmac_f32_e32 v26, 0xbee1c552, v10
	v_fmac_f32_e32 v27, 0xbee1c552, v6
	v_add_f32_e32 v8, v22, v7
	v_add_f32_e32 v9, v25, v5
	;; [unrolled: 1-line block ×4, first 2 shown]
	v_fmac_f32_e32 v17, 0xbee1c552, v10
	v_fmac_f32_e32 v18, 0xbee1c552, v6
	;; [unrolled: 1-line block ×4, first 2 shown]
	v_add_f32_e32 v2, v27, v28
	v_sub_f32_e32 v3, v29, v26
	v_add_f32_e32 v4, v11, v22
	v_sub_f32_e32 v5, v23, v21
	v_sub_f32_e32 v6, v8, v18
	v_add_f32_e32 v7, v17, v9
	v_add_f32_e32 v8, v18, v8
	v_sub_f32_e32 v9, v9, v17
	v_sub_f32_e32 v10, v22, v11
	v_add_f32_e32 v11, v21, v23
	v_sub_f32_e32 v17, v28, v27
	v_add_f32_e32 v18, v26, v29
	s_waitcnt lgkmcnt(0)
	; wave barrier
	ds_write2_b64 v20, v[0:1], v[2:3] offset1:28
	ds_write2_b64 v20, v[4:5], v[6:7] offset0:56 offset1:84
	ds_write2_b64 v20, v[8:9], v[10:11] offset0:112 offset1:140
	ds_write_b64 v20, v[17:18] offset:1344
	s_waitcnt lgkmcnt(0)
	; wave barrier
	s_waitcnt lgkmcnt(0)
	s_and_saveexec_b64 s[0:1], vcc
	s_cbranch_execz .LBB0_25
; %bb.24:
	v_mul_lo_u32 v0, s3, v14
	v_mul_lo_u32 v1, s2, v15
	v_mad_u64_u32 v[4:5], s[0:1], s2, v14, 0
	v_mov_b32_e32 v7, s11
	v_lshl_add_u32 v6, v16, 3, v19
	v_add3_u32 v5, v5, v1, v0
	v_lshlrev_b64 v[4:5], 3, v[4:5]
	v_mov_b32_e32 v17, 0
	v_add_co_u32_e32 v8, vcc, s10, v4
	v_addc_co_u32_e32 v7, vcc, v7, v5, vcc
	v_lshlrev_b64 v[4:5], 3, v[12:13]
	ds_read2_b64 v[0:3], v6 offset1:28
	v_add_co_u32_e32 v8, vcc, v8, v4
	v_addc_co_u32_e32 v7, vcc, v7, v5, vcc
	v_lshlrev_b64 v[4:5], 3, v[16:17]
	v_add_co_u32_e32 v4, vcc, v8, v4
	v_addc_co_u32_e32 v5, vcc, v7, v5, vcc
	s_waitcnt lgkmcnt(0)
	global_store_dwordx2 v[4:5], v[0:1], off
	v_add_u32_e32 v0, 28, v16
	v_mov_b32_e32 v1, v17
	v_lshlrev_b64 v[0:1], 3, v[0:1]
	v_add_u32_e32 v4, 56, v16
	v_add_co_u32_e32 v0, vcc, v8, v0
	v_addc_co_u32_e32 v1, vcc, v7, v1, vcc
	global_store_dwordx2 v[0:1], v[2:3], off
	v_mov_b32_e32 v5, v17
	ds_read2_b64 v[0:3], v6 offset0:56 offset1:84
	v_lshlrev_b64 v[4:5], 3, v[4:5]
	v_add_co_u32_e32 v4, vcc, v8, v4
	v_addc_co_u32_e32 v5, vcc, v7, v5, vcc
	s_waitcnt lgkmcnt(0)
	global_store_dwordx2 v[4:5], v[0:1], off
	v_add_u32_e32 v0, 0x54, v16
	v_mov_b32_e32 v1, v17
	v_lshlrev_b64 v[0:1], 3, v[0:1]
	v_add_u32_e32 v4, 0x70, v16
	v_add_co_u32_e32 v0, vcc, v8, v0
	v_addc_co_u32_e32 v1, vcc, v7, v1, vcc
	global_store_dwordx2 v[0:1], v[2:3], off
	v_mov_b32_e32 v5, v17
	ds_read2_b64 v[0:3], v6 offset0:112 offset1:140
	v_lshlrev_b64 v[4:5], 3, v[4:5]
	v_add_co_u32_e32 v4, vcc, v8, v4
	v_addc_co_u32_e32 v5, vcc, v7, v5, vcc
	s_waitcnt lgkmcnt(0)
	global_store_dwordx2 v[4:5], v[0:1], off
	v_add_u32_e32 v0, 0x8c, v16
	v_mov_b32_e32 v1, v17
	v_lshlrev_b64 v[0:1], 3, v[0:1]
	v_add_u32_e32 v16, 0xa8, v16
	v_add_co_u32_e32 v0, vcc, v8, v0
	v_addc_co_u32_e32 v1, vcc, v7, v1, vcc
	global_store_dwordx2 v[0:1], v[2:3], off
	ds_read_b64 v[0:1], v6 offset:1344
	v_lshlrev_b64 v[2:3], 3, v[16:17]
	v_add_co_u32_e32 v2, vcc, v8, v2
	v_addc_co_u32_e32 v3, vcc, v7, v3, vcc
	s_waitcnt lgkmcnt(0)
	global_store_dwordx2 v[2:3], v[0:1], off
.LBB0_25:
	s_endpgm
	.section	.rodata,"a",@progbits
	.p2align	6, 0x0
	.amdhsa_kernel fft_rtc_back_len196_factors_4_7_7_wgs_56_tpt_28_sp_op_CI_CI_unitstride_sbrr_C2R_dirReg
		.amdhsa_group_segment_fixed_size 0
		.amdhsa_private_segment_fixed_size 0
		.amdhsa_kernarg_size 104
		.amdhsa_user_sgpr_count 6
		.amdhsa_user_sgpr_private_segment_buffer 1
		.amdhsa_user_sgpr_dispatch_ptr 0
		.amdhsa_user_sgpr_queue_ptr 0
		.amdhsa_user_sgpr_kernarg_segment_ptr 1
		.amdhsa_user_sgpr_dispatch_id 0
		.amdhsa_user_sgpr_flat_scratch_init 0
		.amdhsa_user_sgpr_private_segment_size 0
		.amdhsa_uses_dynamic_stack 0
		.amdhsa_system_sgpr_private_segment_wavefront_offset 0
		.amdhsa_system_sgpr_workgroup_id_x 1
		.amdhsa_system_sgpr_workgroup_id_y 0
		.amdhsa_system_sgpr_workgroup_id_z 0
		.amdhsa_system_sgpr_workgroup_info 0
		.amdhsa_system_vgpr_workitem_id 0
		.amdhsa_next_free_vgpr 34
		.amdhsa_next_free_sgpr 28
		.amdhsa_reserve_vcc 1
		.amdhsa_reserve_flat_scratch 0
		.amdhsa_float_round_mode_32 0
		.amdhsa_float_round_mode_16_64 0
		.amdhsa_float_denorm_mode_32 3
		.amdhsa_float_denorm_mode_16_64 3
		.amdhsa_dx10_clamp 1
		.amdhsa_ieee_mode 1
		.amdhsa_fp16_overflow 0
		.amdhsa_exception_fp_ieee_invalid_op 0
		.amdhsa_exception_fp_denorm_src 0
		.amdhsa_exception_fp_ieee_div_zero 0
		.amdhsa_exception_fp_ieee_overflow 0
		.amdhsa_exception_fp_ieee_underflow 0
		.amdhsa_exception_fp_ieee_inexact 0
		.amdhsa_exception_int_div_zero 0
	.end_amdhsa_kernel
	.text
.Lfunc_end0:
	.size	fft_rtc_back_len196_factors_4_7_7_wgs_56_tpt_28_sp_op_CI_CI_unitstride_sbrr_C2R_dirReg, .Lfunc_end0-fft_rtc_back_len196_factors_4_7_7_wgs_56_tpt_28_sp_op_CI_CI_unitstride_sbrr_C2R_dirReg
                                        ; -- End function
	.section	.AMDGPU.csdata,"",@progbits
; Kernel info:
; codeLenInByte = 4348
; NumSgprs: 32
; NumVgprs: 34
; ScratchSize: 0
; MemoryBound: 0
; FloatMode: 240
; IeeeMode: 1
; LDSByteSize: 0 bytes/workgroup (compile time only)
; SGPRBlocks: 3
; VGPRBlocks: 8
; NumSGPRsForWavesPerEU: 32
; NumVGPRsForWavesPerEU: 34
; Occupancy: 7
; WaveLimiterHint : 1
; COMPUTE_PGM_RSRC2:SCRATCH_EN: 0
; COMPUTE_PGM_RSRC2:USER_SGPR: 6
; COMPUTE_PGM_RSRC2:TRAP_HANDLER: 0
; COMPUTE_PGM_RSRC2:TGID_X_EN: 1
; COMPUTE_PGM_RSRC2:TGID_Y_EN: 0
; COMPUTE_PGM_RSRC2:TGID_Z_EN: 0
; COMPUTE_PGM_RSRC2:TIDIG_COMP_CNT: 0
	.type	__hip_cuid_f9ddb7d03a5b824f,@object ; @__hip_cuid_f9ddb7d03a5b824f
	.section	.bss,"aw",@nobits
	.globl	__hip_cuid_f9ddb7d03a5b824f
__hip_cuid_f9ddb7d03a5b824f:
	.byte	0                               ; 0x0
	.size	__hip_cuid_f9ddb7d03a5b824f, 1

	.ident	"AMD clang version 19.0.0git (https://github.com/RadeonOpenCompute/llvm-project roc-6.4.0 25133 c7fe45cf4b819c5991fe208aaa96edf142730f1d)"
	.section	".note.GNU-stack","",@progbits
	.addrsig
	.addrsig_sym __hip_cuid_f9ddb7d03a5b824f
	.amdgpu_metadata
---
amdhsa.kernels:
  - .args:
      - .actual_access:  read_only
        .address_space:  global
        .offset:         0
        .size:           8
        .value_kind:     global_buffer
      - .offset:         8
        .size:           8
        .value_kind:     by_value
      - .actual_access:  read_only
        .address_space:  global
        .offset:         16
        .size:           8
        .value_kind:     global_buffer
      - .actual_access:  read_only
        .address_space:  global
        .offset:         24
        .size:           8
        .value_kind:     global_buffer
      - .actual_access:  read_only
        .address_space:  global
        .offset:         32
        .size:           8
        .value_kind:     global_buffer
      - .offset:         40
        .size:           8
        .value_kind:     by_value
      - .actual_access:  read_only
        .address_space:  global
        .offset:         48
        .size:           8
        .value_kind:     global_buffer
      - .actual_access:  read_only
        .address_space:  global
        .offset:         56
        .size:           8
        .value_kind:     global_buffer
      - .offset:         64
        .size:           4
        .value_kind:     by_value
      - .actual_access:  read_only
        .address_space:  global
        .offset:         72
        .size:           8
        .value_kind:     global_buffer
      - .actual_access:  read_only
        .address_space:  global
        .offset:         80
        .size:           8
        .value_kind:     global_buffer
      - .actual_access:  read_only
        .address_space:  global
        .offset:         88
        .size:           8
        .value_kind:     global_buffer
      - .actual_access:  write_only
        .address_space:  global
        .offset:         96
        .size:           8
        .value_kind:     global_buffer
    .group_segment_fixed_size: 0
    .kernarg_segment_align: 8
    .kernarg_segment_size: 104
    .language:       OpenCL C
    .language_version:
      - 2
      - 0
    .max_flat_workgroup_size: 56
    .name:           fft_rtc_back_len196_factors_4_7_7_wgs_56_tpt_28_sp_op_CI_CI_unitstride_sbrr_C2R_dirReg
    .private_segment_fixed_size: 0
    .sgpr_count:     32
    .sgpr_spill_count: 0
    .symbol:         fft_rtc_back_len196_factors_4_7_7_wgs_56_tpt_28_sp_op_CI_CI_unitstride_sbrr_C2R_dirReg.kd
    .uniform_work_group_size: 1
    .uses_dynamic_stack: false
    .vgpr_count:     34
    .vgpr_spill_count: 0
    .wavefront_size: 64
amdhsa.target:   amdgcn-amd-amdhsa--gfx906
amdhsa.version:
  - 1
  - 2
...

	.end_amdgpu_metadata
